;; amdgpu-corpus repo=ROCm/rocFFT kind=compiled arch=gfx1030 opt=O3
	.text
	.amdgcn_target "amdgcn-amd-amdhsa--gfx1030"
	.amdhsa_code_object_version 6
	.protected	fft_rtc_back_len64_factors_4_4_2_2_wgs_64_tpt_4_dim2_dp_op_CI_CI_sbcc_twdbase8_2step_dirReg_intrinsicReadWrite ; -- Begin function fft_rtc_back_len64_factors_4_4_2_2_wgs_64_tpt_4_dim2_dp_op_CI_CI_sbcc_twdbase8_2step_dirReg_intrinsicReadWrite
	.globl	fft_rtc_back_len64_factors_4_4_2_2_wgs_64_tpt_4_dim2_dp_op_CI_CI_sbcc_twdbase8_2step_dirReg_intrinsicReadWrite
	.p2align	8
	.type	fft_rtc_back_len64_factors_4_4_2_2_wgs_64_tpt_4_dim2_dp_op_CI_CI_sbcc_twdbase8_2step_dirReg_intrinsicReadWrite,@function
fft_rtc_back_len64_factors_4_4_2_2_wgs_64_tpt_4_dim2_dp_op_CI_CI_sbcc_twdbase8_2step_dirReg_intrinsicReadWrite: ; @fft_rtc_back_len64_factors_4_4_2_2_wgs_64_tpt_4_dim2_dp_op_CI_CI_sbcc_twdbase8_2step_dirReg_intrinsicReadWrite
; %bb.0:
	s_clause 0x1
	s_load_dwordx4 s[0:3], s[4:5], 0x10
	s_load_dwordx2 s[22:23], s[4:5], 0x20
	s_mov_b32 s7, 0
	s_mov_b64 s[24:25], 0
	s_waitcnt lgkmcnt(0)
	s_load_dwordx2 s[20:21], s[0:1], 0x8
	s_clause 0x1
	s_load_dwordx2 s[16:17], s[4:5], 0x0
	s_load_dwordx4 s[8:11], s[4:5], 0x58
	s_load_dwordx2 s[18:19], s[2:3], 0x0
	s_load_dwordx2 s[12:13], s[22:23], 0x0
	s_waitcnt lgkmcnt(0)
	s_add_u32 s0, s20, -1
	s_addc_u32 s1, s21, -1
	s_lshr_b64 s[0:1], s[0:1], 4
	s_add_u32 s0, s0, 1
	s_addc_u32 s1, s1, 0
	v_cmp_lt_u64_e64 s7, s[6:7], s[0:1]
	s_and_b32 vcc_lo, exec_lo, s7
	s_cbranch_vccnz .LBB0_2
; %bb.1:
	v_cvt_f32_u32_e32 v1, s0
	s_sub_i32 s13, 0, s0
	v_rcp_iflag_f32_e32 v1, v1
	v_mul_f32_e32 v1, 0x4f7ffffe, v1
	v_cvt_u32_f32_e32 v1, v1
	v_readfirstlane_b32 s7, v1
	s_mul_i32 s13, s13, s7
	s_mul_hi_u32 s13, s7, s13
	s_add_i32 s7, s7, s13
	s_mul_hi_u32 s7, s6, s7
	s_mul_i32 s13, s7, s0
	s_add_i32 s14, s7, 1
	s_sub_i32 s13, s6, s13
	s_sub_i32 s15, s13, s0
	s_cmp_ge_u32 s13, s0
	s_cselect_b32 s7, s14, s7
	s_cselect_b32 s13, s15, s13
	s_add_i32 s14, s7, 1
	s_cmp_ge_u32 s13, s0
	s_cselect_b32 s24, s14, s7
.LBB0_2:
	s_load_dwordx2 s[14:15], s[4:5], 0x8
	s_mul_i32 s1, s24, s1
	s_mul_hi_u32 s4, s24, s0
	s_mul_i32 s0, s24, s0
	s_add_i32 s4, s4, s1
	s_sub_u32 s0, s6, s0
	s_subb_u32 s1, 0, s4
	s_load_dwordx4 s[4:7], s[22:23], 0x8
	s_lshl_b64 s[26:27], s[0:1], 4
	s_load_dwordx4 s[0:3], s[2:3], 0x8
	v_lshrrev_b32_e32 v69, 4, v0
	v_and_b32_e32 v77, 15, v0
	v_mov_b32_e32 v46, s27
	v_or_b32_e32 v68, 16, v69
	v_or_b32_e32 v71, 32, v69
	;; [unrolled: 1-line block ×4, first 2 shown]
	v_mul_lo_u32 v1, s18, v69
	v_mul_lo_u32 v5, s18, v68
	;; [unrolled: 1-line block ×4, first 2 shown]
	v_cmp_gt_u64_e32 vcc_lo, s[20:21], v[45:46]
	v_or_b32_e32 v75, 4, v69
	v_or_b32_e32 v72, 20, v69
	;; [unrolled: 1-line block ×3, first 2 shown]
	s_waitcnt lgkmcnt(0)
	s_mul_i32 s3, s4, s26
	s_mul_i32 s5, s6, s24
	;; [unrolled: 1-line block ×4, first 2 shown]
	v_mul_lo_u32 v9, s0, v77
	s_add_i32 s1, s2, s1
	s_add_i32 s5, s5, s3
	s_add_u32 s2, s26, 16
	s_addc_u32 s3, s27, 0
	s_lshl_b32 s6, s1, 4
	v_cmp_le_u64_e64 s2, s[2:3], s[20:21]
	s_mov_b32 s3, 0x31014000
	v_add_lshl_u32 v1, v9, v1, 4
	v_add_lshl_u32 v5, v9, v5, 4
	;; [unrolled: 1-line block ×4, first 2 shown]
	s_or_b32 vcc_lo, s2, vcc_lo
	s_mov_b32 s2, -2
	v_cndmask_b32_e32 v1, -1, v1, vcc_lo
	v_cndmask_b32_e32 v5, -1, v5, vcc_lo
	;; [unrolled: 1-line block ×4, first 2 shown]
	s_mov_b32 s0, s8
	s_mov_b32 s1, s9
	v_or_b32_e32 v73, 52, v69
	s_clause 0x3
	buffer_load_dwordx4 v[1:4], v1, s[0:3], s6 offen
	buffer_load_dwordx4 v[5:8], v5, s[0:3], s6 offen
	buffer_load_dwordx4 v[10:13], v10, s[0:3], s6 offen
	buffer_load_dwordx4 v[14:17], v14, s[0:3], s6 offen
	v_mul_lo_u32 v18, s18, v75
	v_mul_lo_u32 v22, s18, v72
	;; [unrolled: 1-line block ×4, first 2 shown]
	v_or_b32_e32 v74, 24, v69
	v_or_b32_e32 v82, 40, v69
	;; [unrolled: 1-line block ×4, first 2 shown]
	v_add_lshl_u32 v18, v9, v18, 4
	v_add_lshl_u32 v22, v9, v22, 4
	;; [unrolled: 1-line block ×4, first 2 shown]
	v_mul_lo_u32 v38, s18, v74
	v_cndmask_b32_e32 v18, -1, v18, vcc_lo
	v_cndmask_b32_e32 v22, -1, v22, vcc_lo
	;; [unrolled: 1-line block ×4, first 2 shown]
	v_mul_lo_u32 v42, s18, v82
	s_clause 0x3
	buffer_load_dwordx4 v[18:21], v18, s[0:3], s6 offen
	buffer_load_dwordx4 v[22:25], v22, s[0:3], s6 offen
	;; [unrolled: 1-line block ×4, first 2 shown]
	v_add_lshl_u32 v38, v9, v38, 4
	v_mul_lo_u32 v34, s18, v81
	v_or_b32_e32 v83, 12, v69
	v_add_lshl_u32 v42, v9, v42, 4
	v_or_b32_e32 v79, 28, v69
	v_cndmask_b32_e32 v38, -1, v38, vcc_lo
	v_or_b32_e32 v84, 44, v69
	v_or_b32_e32 v80, 60, v69
	v_cndmask_b32_e32 v42, -1, v42, vcc_lo
	v_add_lshl_u32 v34, v9, v34, 4
	s_clause 0x1
	buffer_load_dwordx4 v[38:41], v38, s[0:3], s6 offen
	buffer_load_dwordx4 v[46:49], v42, s[0:3], s6 offen
	v_mul_lo_u32 v42, s18, v78
	v_cndmask_b32_e32 v34, -1, v34, vcc_lo
	buffer_load_dwordx4 v[34:37], v34, s[0:3], s6 offen
	v_add_lshl_u32 v42, v9, v42, 4
	v_cndmask_b32_e32 v42, -1, v42, vcc_lo
	buffer_load_dwordx4 v[50:53], v42, s[0:3], s6 offen
	v_mul_lo_u32 v42, s18, v83
	v_add_lshl_u32 v42, v9, v42, 4
	v_cndmask_b32_e32 v42, -1, v42, vcc_lo
	buffer_load_dwordx4 v[54:57], v42, s[0:3], s6 offen
	v_mul_lo_u32 v42, s18, v79
	;; [unrolled: 4-line block ×4, first 2 shown]
	v_add_lshl_u32 v9, v9, v42, 4
	v_cndmask_b32_e32 v9, -1, v9, vcc_lo
	buffer_load_dwordx4 v[85:88], v9, s[0:3], s6 offen
	s_mov_b32 s0, s10
	s_mov_b32 s1, s11
	s_waitcnt vmcnt(13)
	v_add_f64 v[42:43], v[1:2], -v[10:11]
	v_add_f64 v[66:67], v[3:4], -v[12:13]
	s_waitcnt vmcnt(12)
	v_add_f64 v[13:14], v[5:6], -v[14:15]
	v_add_f64 v[15:16], v[7:8], -v[16:17]
	v_fma_f64 v[9:10], v[1:2], 2.0, -v[42:43]
	v_fma_f64 v[11:12], v[3:4], 2.0, -v[66:67]
	;; [unrolled: 1-line block ×4, first 2 shown]
	s_waitcnt vmcnt(8)
	v_add_f64 v[30:31], v[22:23], -v[30:31]
	v_add_f64 v[32:33], v[24:25], -v[32:33]
	s_waitcnt vmcnt(5)
	v_add_f64 v[46:47], v[34:35], -v[46:47]
	v_add_f64 v[48:49], v[36:37], -v[48:49]
	;; [unrolled: 1-line block ×4, first 2 shown]
	s_waitcnt vmcnt(4)
	v_add_f64 v[52:53], v[40:41], -v[52:53]
	v_add_f64 v[50:51], v[38:39], -v[50:51]
	v_fma_f64 v[5:6], v[9:10], 2.0, -v[1:2]
	v_fma_f64 v[7:8], v[11:12], 2.0, -v[3:4]
	v_add_f64 v[9:10], v[42:43], v[15:16]
	v_add_f64 v[11:12], v[66:67], -v[13:14]
	v_fma_f64 v[13:14], v[42:43], 2.0, -v[9:10]
	v_fma_f64 v[15:16], v[66:67], 2.0, -v[11:12]
	v_add_f64 v[42:43], v[18:19], -v[26:27]
	v_add_f64 v[66:67], v[20:21], -v[28:29]
	s_waitcnt vmcnt(1)
	v_add_f64 v[89:90], v[56:57], -v[64:65]
	v_fma_f64 v[26:27], v[18:19], 2.0, -v[42:43]
	v_fma_f64 v[28:29], v[20:21], 2.0, -v[66:67]
	;; [unrolled: 1-line block ×4, first 2 shown]
	s_waitcnt vmcnt(0)
	v_add_f64 v[85:86], v[58:59], -v[85:86]
	v_add_f64 v[87:88], v[60:61], -v[87:88]
	v_fma_f64 v[64:65], v[56:57], 2.0, -v[89:90]
	v_add_f64 v[17:18], v[26:27], -v[17:18]
	v_add_f64 v[19:20], v[28:29], -v[19:20]
	v_fma_f64 v[21:22], v[26:27], 2.0, -v[17:18]
	v_fma_f64 v[23:24], v[28:29], 2.0, -v[19:20]
	v_add_f64 v[25:26], v[42:43], v[32:33]
	v_add_f64 v[27:28], v[66:67], -v[30:31]
	v_fma_f64 v[29:30], v[42:43], 2.0, -v[25:26]
	v_fma_f64 v[31:32], v[66:67], 2.0, -v[27:28]
	;; [unrolled: 1-line block ×6, first 2 shown]
	v_add_f64 v[35:36], v[66:67], -v[35:36]
	v_add_f64 v[33:34], v[42:43], -v[33:34]
	v_fma_f64 v[39:40], v[66:67], 2.0, -v[35:36]
	v_add_f64 v[66:67], v[54:55], -v[62:63]
	v_fma_f64 v[37:38], v[42:43], 2.0, -v[33:34]
	;; [unrolled: 2-line block ×3, first 2 shown]
	v_add_f64 v[41:42], v[46:47], v[52:53]
	v_fma_f64 v[62:63], v[54:55], 2.0, -v[66:67]
	v_fma_f64 v[53:54], v[60:61], 2.0, -v[87:88]
	v_add_f64 v[59:60], v[66:67], v[87:88]
	v_fma_f64 v[48:49], v[48:49], 2.0, -v[43:44]
	v_fma_f64 v[46:47], v[46:47], 2.0, -v[41:42]
	v_add_f64 v[51:52], v[62:63], -v[50:51]
	v_add_f64 v[53:54], v[64:65], -v[53:54]
	v_lshlrev_b32_e32 v50, 4, v77
	v_fma_f64 v[55:56], v[62:63], 2.0, -v[51:52]
	v_add_f64 v[61:62], v[89:90], -v[85:86]
	v_fma_f64 v[57:58], v[64:65], 2.0, -v[53:54]
	v_fma_f64 v[63:64], v[66:67], 2.0, -v[59:60]
	v_lshlrev_b32_e32 v67, 10, v69
	v_add3_u32 v67, 0, v67, v50
	ds_write_b128 v67, v[5:8]
	ds_write_b128 v67, v[13:16] offset:256
	ds_write_b128 v67, v[1:4] offset:512
	;; [unrolled: 1-line block ×3, first 2 shown]
	v_lshlrev_b32_e32 v1, 10, v75
	v_lshlrev_b32_e32 v2, 8, v69
	v_add3_u32 v1, 0, v1, v50
	ds_write_b128 v1, v[21:24]
	ds_write_b128 v1, v[29:32] offset:256
	ds_write_b128 v1, v[17:20] offset:512
	;; [unrolled: 1-line block ×3, first 2 shown]
	v_fma_f64 v[65:66], v[89:90], 2.0, -v[61:62]
	v_lshlrev_b32_e32 v1, 10, v81
	v_mul_u32_u24_e32 v89, 3, v69
	v_add3_u32 v1, 0, v1, v50
	ds_write_b128 v1, v[37:40]
	ds_write_b128 v1, v[46:49] offset:256
	ds_write_b128 v1, v[33:36] offset:512
	;; [unrolled: 1-line block ×3, first 2 shown]
	v_lshlrev_b32_e32 v1, 10, v83
	v_lshlrev_b32_e32 v97, 4, v89
	v_add3_u32 v1, 0, v1, v50
	ds_write_b128 v1, v[55:58]
	ds_write_b128 v1, v[63:66] offset:256
	ds_write_b128 v1, v[51:54] offset:512
	;; [unrolled: 1-line block ×3, first 2 shown]
	v_add3_u32 v51, 0, v2, v50
	v_lshlrev_b32_e32 v2, 8, v68
	v_mad_i32_i24 v55, 0xfffffd00, v83, v1
	s_waitcnt lgkmcnt(0)
	s_barrier
	buffer_gl0_inv
	v_add3_u32 v52, 0, v2, v50
	v_lshlrev_b32_e32 v2, 8, v75
	ds_read_b128 v[13:16], v51
	ds_read_b128 v[41:44], v52
	ds_read_b128 v[46:49], v51 offset:8192
	ds_read_b128 v[56:59], v51 offset:12288
	v_add3_u32 v53, 0, v2, v50
	v_lshlrev_b32_e32 v2, 8, v81
	ds_read_b128 v[9:12], v53
	ds_read_b128 v[60:63], v51 offset:5120
	ds_read_b128 v[64:67], v51 offset:9216
	;; [unrolled: 1-line block ×3, first 2 shown]
	v_add3_u32 v54, 0, v2, v50
	ds_read_b128 v[5:8], v54
	ds_read_b128 v[37:40], v51 offset:6144
	ds_read_b128 v[33:36], v51 offset:10240
	;; [unrolled: 1-line block ×3, first 2 shown]
	ds_read_b128 v[1:4], v55
	ds_read_b128 v[25:28], v51 offset:7168
	ds_read_b128 v[21:24], v51 offset:11264
	;; [unrolled: 1-line block ×3, first 2 shown]
	s_clause 0x2
	global_load_dwordx4 v[89:92], v97, s[16:17] offset:32
	global_load_dwordx4 v[93:96], v97, s[16:17] offset:16
	global_load_dwordx4 v[97:100], v97, s[16:17]
	s_waitcnt vmcnt(0) lgkmcnt(0)
	s_barrier
	buffer_gl0_inv
	v_mul_f64 v[101:102], v[43:44], v[99:100]
	v_fma_f64 v[101:102], v[41:42], v[97:98], v[101:102]
	v_mul_f64 v[41:42], v[41:42], v[99:100]
	v_fma_f64 v[41:42], v[43:44], v[97:98], -v[41:42]
	v_mul_f64 v[43:44], v[48:49], v[95:96]
	v_fma_f64 v[43:44], v[46:47], v[93:94], v[43:44]
	v_mul_f64 v[46:47], v[46:47], v[95:96]
	v_fma_f64 v[46:47], v[48:49], v[93:94], -v[46:47]
	;; [unrolled: 4-line block ×7, first 2 shown]
	v_mul_f64 v[37:38], v[35:36], v[95:96]
	v_add_f64 v[39:40], v[11:12], -v[64:65]
	v_fma_f64 v[105:106], v[33:34], v[93:94], v[37:38]
	v_mul_f64 v[33:34], v[33:34], v[95:96]
	v_add_f64 v[37:38], v[9:10], -v[62:63]
	v_fma_f64 v[107:108], v[35:36], v[93:94], -v[33:34]
	v_mul_f64 v[33:34], v[31:32], v[91:92]
	v_add_f64 v[35:36], v[58:59], -v[66:67]
	v_fma_f64 v[109:110], v[29:30], v[89:90], v[33:34]
	v_mul_f64 v[29:30], v[29:30], v[91:92]
	v_add_f64 v[33:34], v[60:61], -v[85:86]
	v_fma_f64 v[111:112], v[31:32], v[89:90], -v[29:30]
	v_mul_f64 v[29:30], v[27:28], v[99:100]
	v_fma_f64 v[31:32], v[11:12], 2.0, -v[39:40]
	v_fma_f64 v[11:12], v[60:61], 2.0, -v[33:34]
	v_add_f64 v[33:34], v[37:38], v[33:34]
	v_fma_f64 v[113:114], v[25:26], v[97:98], v[29:30]
	v_mul_f64 v[25:26], v[25:26], v[99:100]
	v_fma_f64 v[29:30], v[9:10], 2.0, -v[37:38]
	v_fma_f64 v[9:10], v[58:59], 2.0, -v[35:36]
	v_add_f64 v[58:59], v[7:8], -v[107:108]
	v_add_f64 v[11:12], v[31:32], -v[11:12]
	;; [unrolled: 1-line block ×3, first 2 shown]
	v_fma_f64 v[37:38], v[37:38], 2.0, -v[33:34]
	v_fma_f64 v[97:98], v[27:28], v[97:98], -v[25:26]
	v_mul_f64 v[25:26], v[23:24], v[95:96]
	v_add_f64 v[27:28], v[15:16], -v[46:47]
	v_add_f64 v[46:47], v[103:104], -v[111:112]
	;; [unrolled: 1-line block ×3, first 2 shown]
	v_fma_f64 v[31:32], v[31:32], 2.0, -v[11:12]
	v_fma_f64 v[39:40], v[39:40], 2.0, -v[35:36]
	v_fma_f64 v[99:100], v[21:22], v[93:94], v[25:26]
	v_mul_f64 v[21:22], v[21:22], v[95:96]
	v_add_f64 v[25:26], v[13:14], -v[43:44]
	v_fma_f64 v[43:44], v[7:8], 2.0, -v[58:59]
	v_fma_f64 v[7:8], v[103:104], 2.0, -v[46:47]
	;; [unrolled: 1-line block ×3, first 2 shown]
	v_add_f64 v[60:61], v[1:2], -v[99:100]
	v_fma_f64 v[93:94], v[23:24], v[93:94], -v[21:22]
	v_mul_f64 v[21:22], v[19:20], v[91:92]
	v_add_f64 v[23:24], v[101:102], -v[48:49]
	v_add_f64 v[48:49], v[87:88], -v[109:110]
	;; [unrolled: 1-line block ×3, first 2 shown]
	v_fma_f64 v[62:63], v[1:2], 2.0, -v[60:61]
	v_add_f64 v[66:67], v[3:4], -v[93:94]
	v_fma_f64 v[95:96], v[17:18], v[89:90], v[21:22]
	v_mul_f64 v[17:18], v[17:18], v[91:92]
	v_add_f64 v[21:22], v[41:42], -v[56:57]
	v_add_f64 v[56:57], v[5:6], -v[105:106]
	v_fma_f64 v[43:44], v[43:44], 2.0, -v[7:8]
	v_fma_f64 v[64:65], v[3:4], 2.0, -v[66:67]
	v_fma_f64 v[89:90], v[19:20], v[89:90], -v[17:18]
	v_fma_f64 v[19:20], v[15:16], 2.0, -v[27:28]
	v_fma_f64 v[15:16], v[41:42], 2.0, -v[21:22]
	;; [unrolled: 1-line block ×4, first 2 shown]
	v_add_f64 v[87:88], v[113:114], -v[95:96]
	v_fma_f64 v[17:18], v[13:14], 2.0, -v[25:26]
	v_fma_f64 v[13:14], v[101:102], 2.0, -v[23:24]
	v_add_f64 v[21:22], v[25:26], v[21:22]
	v_add_f64 v[23:24], v[27:28], -v[23:24]
	v_add_f64 v[46:47], v[56:57], v[46:47]
	v_add_f64 v[48:49], v[58:59], -v[48:49]
	v_add_f64 v[85:86], v[97:98], -v[89:90]
	;; [unrolled: 1-line block ×4, first 2 shown]
	v_fma_f64 v[1:2], v[113:114], 2.0, -v[87:88]
	v_add_f64 v[87:88], v[66:67], -v[87:88]
	v_add_f64 v[13:14], v[17:18], -v[13:14]
	v_fma_f64 v[25:26], v[25:26], 2.0, -v[21:22]
	v_fma_f64 v[27:28], v[27:28], 2.0, -v[23:24]
	;; [unrolled: 1-line block ×5, first 2 shown]
	v_add_f64 v[85:86], v[60:61], v[85:86]
	v_fma_f64 v[19:20], v[19:20], 2.0, -v[15:16]
	v_fma_f64 v[41:42], v[41:42], 2.0, -v[5:6]
	v_add_f64 v[1:2], v[62:63], -v[1:2]
	v_fma_f64 v[91:92], v[66:67], 2.0, -v[87:88]
	v_fma_f64 v[17:18], v[17:18], 2.0, -v[13:14]
	ds_write_b128 v51, v[17:20]
	ds_write_b128 v51, v[25:28] offset:1024
	ds_write_b128 v51, v[13:16] offset:2048
	;; [unrolled: 1-line block ×7, first 2 shown]
	v_add_f64 v[3:4], v[64:65], -v[3:4]
	v_fma_f64 v[62:63], v[62:63], 2.0, -v[1:2]
	v_fma_f64 v[89:90], v[60:61], 2.0, -v[85:86]
	v_lshlrev_b32_e32 v9, 8, v71
	v_lshlrev_b32_e32 v60, 4, v81
	v_add3_u32 v61, 0, v9, v50
	v_fma_f64 v[64:65], v[64:65], 2.0, -v[3:4]
	ds_write_b128 v61, v[41:44]
	ds_write_b128 v61, v[56:59] offset:1024
	ds_write_b128 v61, v[5:8] offset:2048
	ds_write_b128 v61, v[46:49] offset:3072
	ds_write_b128 v51, v[62:65] offset:12288
	ds_write_b128 v51, v[89:92] offset:13312
	ds_write_b128 v51, v[1:4] offset:14336
	ds_write_b128 v51, v[85:88] offset:15360
	v_lshlrev_b32_e32 v1, 8, v72
	v_and_b32_e32 v56, 48, v0
	s_waitcnt lgkmcnt(0)
	s_barrier
	buffer_gl0_inv
	v_add3_u32 v57, 0, v1, v50
	v_lshlrev_b32_e32 v1, 8, v74
	ds_read_b128 v[29:32], v51
	ds_read_b128 v[62:65], v51 offset:8192
	ds_read_b128 v[25:28], v53
	ds_read_b128 v[85:88], v51 offset:9216
	;; [unrolled: 2-line block ×6, first 2 shown]
	v_add3_u32 v58, 0, v1, v50
	v_lshlrev_b32_e32 v1, 8, v79
	ds_read_b128 v[5:8], v58
	ds_read_b128 v[37:40], v51 offset:14336
	v_add3_u32 v59, 0, v1, v50
	ds_read_b128 v[1:4], v59
	ds_read_b128 v[33:36], v51 offset:15360
	global_load_dwordx4 v[101:104], v56, s[16:17] offset:192
	v_lshlrev_b32_e32 v0, 4, v75
	global_load_dwordx2 v[109:110], v60, s[16:17] offset:192
	s_waitcnt vmcnt(1) lgkmcnt(14)
	v_mul_f64 v[46:47], v[64:65], v[103:104]
	v_fma_f64 v[48:49], v[62:63], v[101:102], v[46:47]
	v_mul_f64 v[46:47], v[62:63], v[103:104]
	v_and_b32_e32 v63, 7, v72
	v_lshlrev_b32_e32 v62, 4, v83
	v_lshlrev_b32_e32 v115, 4, v63
	global_load_dwordx4 v[105:108], v115, s[16:17] offset:192
	v_fma_f64 v[46:47], v[64:65], v[101:102], -v[46:47]
	global_load_dwordx2 v[64:65], v0, s[16:17] offset:192
	s_waitcnt vmcnt(1) lgkmcnt(12)
	v_mul_f64 v[66:67], v[87:88], v[107:108]
	s_waitcnt vmcnt(0)
	v_fma_f64 v[66:67], v[85:86], v[64:65], v[66:67]
	v_mul_f64 v[85:86], v[85:86], v[107:108]
	v_fma_f64 v[107:108], v[87:88], v[64:65], -v[85:86]
	v_and_b32_e32 v64, 11, v74
	v_and_b32_e32 v65, 15, v79
	v_lshlrev_b32_e32 v116, 4, v64
	v_lshlrev_b32_e32 v117, 4, v65
	global_load_dwordx4 v[85:88], v116, s[16:17] offset:192
	s_waitcnt vmcnt(0) lgkmcnt(10)
	v_mul_f64 v[111:112], v[91:92], v[87:88]
	v_mul_f64 v[87:88], v[89:90], v[87:88]
	v_fma_f64 v[111:112], v[89:90], v[109:110], v[111:112]
	v_fma_f64 v[91:92], v[91:92], v[109:110], -v[87:88]
	s_clause 0x1
	global_load_dwordx2 v[109:110], v62, s[16:17] offset:192
	global_load_dwordx4 v[87:90], v117, s[16:17] offset:192
	s_waitcnt vmcnt(0) lgkmcnt(8)
	v_mul_f64 v[113:114], v[95:96], v[89:90]
	v_mul_f64 v[89:90], v[93:94], v[89:90]
	v_fma_f64 v[113:114], v[93:94], v[109:110], v[113:114]
	s_waitcnt lgkmcnt(6)
	v_mul_f64 v[93:94], v[99:100], v[103:104]
	v_fma_f64 v[89:90], v[95:96], v[109:110], -v[89:90]
	v_mul_f64 v[95:96], v[97:98], v[103:104]
	v_fma_f64 v[93:94], v[97:98], v[101:102], v[93:94]
	global_load_dwordx2 v[97:98], v115, s[16:17] offset:200
	v_fma_f64 v[95:96], v[99:100], v[101:102], -v[95:96]
	s_waitcnt vmcnt(0) lgkmcnt(4)
	v_mul_f64 v[99:100], v[43:44], v[97:98]
	v_fma_f64 v[99:100], v[41:42], v[105:106], v[99:100]
	v_mul_f64 v[41:42], v[41:42], v[97:98]
	v_fma_f64 v[97:98], v[43:44], v[105:106], -v[41:42]
	global_load_dwordx2 v[41:42], v116, s[16:17] offset:200
	s_waitcnt vmcnt(0) lgkmcnt(2)
	v_mul_f64 v[43:44], v[39:40], v[41:42]
	v_fma_f64 v[101:102], v[37:38], v[85:86], v[43:44]
	v_mul_f64 v[37:38], v[37:38], v[41:42]
	v_add_f64 v[41:42], v[21:22], -v[111:112]
	v_add_f64 v[43:44], v[23:24], -v[91:92]
	;; [unrolled: 1-line block ×3, first 2 shown]
	v_fma_f64 v[103:104], v[39:40], v[85:86], -v[37:38]
	global_load_dwordx2 v[37:38], v117, s[16:17] offset:200
	v_add_f64 v[85:86], v[13:14], -v[93:94]
	v_fma_f64 v[21:22], v[21:22], 2.0, -v[41:42]
	v_fma_f64 v[23:24], v[23:24], 2.0, -v[43:44]
	v_add_f64 v[93:94], v[5:6], -v[101:102]
	v_fma_f64 v[11:12], v[11:12], 2.0, -v[91:92]
	s_waitcnt vmcnt(0) lgkmcnt(0)
	s_barrier
	buffer_gl0_inv
	v_fma_f64 v[13:14], v[13:14], 2.0, -v[85:86]
	v_fma_f64 v[5:6], v[5:6], 2.0, -v[93:94]
	v_mul_f64 v[39:40], v[35:36], v[37:38]
	v_fma_f64 v[105:106], v[33:34], v[87:88], v[39:40]
	v_mul_f64 v[33:34], v[33:34], v[37:38]
	v_add_f64 v[37:38], v[25:26], -v[66:67]
	v_add_f64 v[39:40], v[27:28], -v[107:108]
	;; [unrolled: 1-line block ×3, first 2 shown]
	v_fma_f64 v[109:110], v[35:36], v[87:88], -v[33:34]
	v_add_f64 v[33:34], v[29:30], -v[48:49]
	v_add_f64 v[35:36], v[31:32], -v[46:47]
	;; [unrolled: 1-line block ×6, first 2 shown]
	v_fma_f64 v[25:26], v[25:26], 2.0, -v[37:38]
	v_fma_f64 v[27:28], v[27:28], 2.0, -v[39:40]
	v_add_f64 v[95:96], v[7:8], -v[103:104]
	v_fma_f64 v[1:2], v[1:2], 2.0, -v[97:98]
	v_add_f64 v[99:100], v[3:4], -v[109:110]
	v_fma_f64 v[29:30], v[29:30], 2.0, -v[33:34]
	v_fma_f64 v[31:32], v[31:32], 2.0, -v[35:36]
	;; [unrolled: 1-line block ×6, first 2 shown]
	ds_write_b128 v51, v[29:32]
	ds_write_b128 v51, v[33:36] offset:4096
	ds_write_b128 v53, v[25:28]
	ds_write_b128 v53, v[37:40] offset:4096
	;; [unrolled: 2-line block ×3, first 2 shown]
	v_lshlrev_b32_e32 v21, 8, v83
	v_fma_f64 v[7:8], v[7:8], 2.0, -v[95:96]
	v_fma_f64 v[3:4], v[3:4], 2.0, -v[99:100]
	v_mov_b32_e32 v44, 4
	v_add3_u32 v21, 0, v21, v50
	ds_write_b128 v21, v[17:20]
	ds_write_b128 v21, v[46:49] offset:4096
	ds_write_b128 v61, v[13:16]
	ds_write_b128 v61, v[85:88] offset:4096
	v_lshlrev_b32_e32 v13, 8, v63
	v_add3_u32 v13, 0, v13, v50
	ds_write_b128 v13, v[9:12] offset:8192
	ds_write_b128 v13, v[89:92] offset:12288
	v_lshlrev_b32_e32 v9, 8, v64
	v_add3_u32 v9, 0, v9, v50
	ds_write_b128 v9, v[5:8] offset:8192
	;; [unrolled: 4-line block ×3, first 2 shown]
	ds_write_b128 v5, v[97:100] offset:12288
	s_waitcnt lgkmcnt(0)
	s_barrier
	buffer_gl0_inv
	ds_read_b128 v[1:4], v51
	ds_read_b128 v[5:8], v51 offset:8192
	ds_read_b128 v[9:12], v53
	ds_read_b128 v[13:16], v51 offset:9216
	;; [unrolled: 2-line block ×8, first 2 shown]
	global_load_dwordx4 v[56:59], v56, s[16:17] offset:448
	s_waitcnt vmcnt(0) lgkmcnt(14)
	v_mul_f64 v[42:43], v[7:8], v[58:59]
	v_fma_f64 v[42:43], v[5:6], v[56:57], v[42:43]
	v_mul_f64 v[5:6], v[5:6], v[58:59]
	v_fma_f64 v[50:51], v[7:8], v[56:57], -v[5:6]
	global_load_dwordx4 v[5:8], v0, s[16:17] offset:448
	v_lshlrev_b32_e32 v0, 4, v68
	s_waitcnt vmcnt(0) lgkmcnt(12)
	v_mul_f64 v[56:57], v[15:16], v[7:8]
	v_mul_f64 v[7:8], v[13:14], v[7:8]
	v_fma_f64 v[56:57], v[13:14], v[5:6], v[56:57]
	v_fma_f64 v[13:14], v[15:16], v[5:6], -v[7:8]
	global_load_dwordx4 v[5:8], v60, s[16:17] offset:448
	v_add_f64 v[103:104], v[9:10], -v[56:57]
	v_add_f64 v[105:106], v[11:12], -v[13:14]
	v_fma_f64 v[107:108], v[9:10], 2.0, -v[103:104]
	v_fma_f64 v[109:110], v[11:12], 2.0, -v[105:106]
	s_waitcnt vmcnt(0) lgkmcnt(10)
	v_mul_f64 v[15:16], v[23:24], v[7:8]
	v_mul_f64 v[7:8], v[21:22], v[7:8]
	v_fma_f64 v[15:16], v[21:22], v[5:6], v[15:16]
	v_fma_f64 v[24:25], v[23:24], v[5:6], -v[7:8]
	global_load_dwordx4 v[5:8], v62, s[16:17] offset:448
	v_add_f64 v[24:25], v[19:20], -v[24:25]
	s_waitcnt vmcnt(0) lgkmcnt(8)
	v_mul_f64 v[21:22], v[32:33], v[7:8]
	v_mul_f64 v[7:8], v[30:31], v[7:8]
	v_fma_f64 v[58:59], v[30:31], v[5:6], v[21:22]
	v_fma_f64 v[32:33], v[32:33], v[5:6], -v[7:8]
	global_load_dwordx4 v[5:8], v0, s[16:17] offset:448
	v_lshlrev_b32_e32 v0, 4, v72
	v_add_f64 v[30:31], v[26:27], -v[58:59]
	v_add_f64 v[32:33], v[28:29], -v[32:33]
	v_fma_f64 v[26:27], v[26:27], 2.0, -v[30:31]
	v_fma_f64 v[28:29], v[28:29], 2.0, -v[32:33]
	s_waitcnt vmcnt(0) lgkmcnt(6)
	v_mul_f64 v[21:22], v[40:41], v[7:8]
	v_mul_f64 v[7:8], v[38:39], v[7:8]
	v_fma_f64 v[60:61], v[38:39], v[5:6], v[21:22]
	v_fma_f64 v[40:41], v[40:41], v[5:6], -v[7:8]
	global_load_dwordx4 v[5:8], v0, s[16:17] offset:448
	v_lshlrev_b32_e32 v0, 4, v74
	v_add_f64 v[38:39], v[34:35], -v[60:61]
	v_add_f64 v[40:41], v[36:37], -v[40:41]
	v_fma_f64 v[34:35], v[34:35], 2.0, -v[38:39]
	v_fma_f64 v[36:37], v[36:37], 2.0, -v[40:41]
	s_waitcnt vmcnt(0) lgkmcnt(4)
	v_mul_f64 v[21:22], v[54:55], v[7:8]
	v_mul_f64 v[7:8], v[52:53], v[7:8]
	v_fma_f64 v[97:98], v[52:53], v[5:6], v[21:22]
	v_fma_f64 v[52:53], v[54:55], v[5:6], -v[7:8]
	global_load_dwordx4 v[5:8], v0, s[16:17] offset:448
	v_lshlrev_b32_e32 v0, 4, v79
	v_add_f64 v[52:53], v[48:49], -v[52:53]
	v_fma_f64 v[48:49], v[48:49], 2.0, -v[52:53]
	s_waitcnt vmcnt(0) lgkmcnt(2)
	v_mul_f64 v[21:22], v[87:88], v[7:8]
	v_mul_f64 v[7:8], v[85:86], v[7:8]
	v_fma_f64 v[54:55], v[85:86], v[5:6], v[21:22]
	v_fma_f64 v[85:86], v[87:88], v[5:6], -v[7:8]
	global_load_dwordx4 v[5:8], v0, s[16:17] offset:448
	v_add_f64 v[58:59], v[63:64], -v[54:55]
	v_add_f64 v[60:61], v[65:66], -v[85:86]
	v_fma_f64 v[54:55], v[63:64], 2.0, -v[58:59]
	v_fma_f64 v[56:57], v[65:66], 2.0, -v[60:61]
	s_waitcnt vmcnt(0) lgkmcnt(0)
	v_mul_f64 v[21:22], v[95:96], v[7:8]
	v_mul_f64 v[7:8], v[93:94], v[7:8]
	v_fma_f64 v[87:88], v[93:94], v[5:6], v[21:22]
	v_fma_f64 v[5:6], v[95:96], v[5:6], -v[7:8]
	v_add_f64 v[95:96], v[3:4], -v[50:51]
	v_add_f64 v[93:94], v[1:2], -v[42:43]
	v_add_f64 v[22:23], v[17:18], -v[15:16]
	v_fma_f64 v[20:21], v[19:20], 2.0, -v[24:25]
	v_add_f64 v[50:51], v[46:47], -v[97:98]
	v_add_f64 v[64:65], v[91:92], -v[5:6]
	v_fma_f64 v[101:102], v[3:4], 2.0, -v[95:96]
	v_mul_lo_u32 v4, v45, v69
	v_fma_f64 v[99:100], v[1:2], 2.0, -v[93:94]
	v_fma_f64 v[111:112], v[17:18], 2.0, -v[22:23]
	;; [unrolled: 1-line block ×3, first 2 shown]
	v_add_f64 v[46:47], v[89:90], -v[87:88]
	v_lshlrev_b32_sdwa v0, v44, v4 dst_sel:DWORD dst_unused:UNUSED_PAD src0_sel:DWORD src1_sel:BYTE_0
	v_bfe_u32 v4, v4, 8, 8
	global_load_dwordx4 v[0:3], v0, s[14:15]
	v_lshl_or_b32 v4, v4, 4, 0x1000
	global_load_dwordx4 v[4:7], v4, s[14:15]
	v_fma_f64 v[66:67], v[91:92], 2.0, -v[64:65]
	v_fma_f64 v[62:63], v[89:90], 2.0, -v[46:47]
	s_waitcnt vmcnt(0)
	v_mul_f64 v[8:9], v[2:3], v[6:7]
	v_fma_f64 v[8:9], v[0:1], v[4:5], -v[8:9]
	v_mul_f64 v[0:1], v[0:1], v[6:7]
	v_fma_f64 v[2:3], v[2:3], v[4:5], v[0:1]
	v_mul_f64 v[0:1], v[101:102], v[2:3]
	v_mul_f64 v[2:3], v[99:100], v[2:3]
	v_fma_f64 v[0:1], v[99:100], v[8:9], v[0:1]
	v_fma_f64 v[2:3], v[101:102], v[8:9], -v[2:3]
	v_mul_lo_u32 v8, v45, v71
	v_lshlrev_b32_sdwa v4, v44, v8 dst_sel:DWORD dst_unused:UNUSED_PAD src0_sel:DWORD src1_sel:BYTE_0
	v_bfe_u32 v8, v8, 8, 8
	global_load_dwordx4 v[4:7], v4, s[14:15]
	v_lshl_or_b32 v8, v8, 4, 0x1000
	global_load_dwordx4 v[8:11], v8, s[14:15]
	s_waitcnt vmcnt(0)
	v_mul_f64 v[12:13], v[6:7], v[10:11]
	v_fma_f64 v[12:13], v[4:5], v[8:9], -v[12:13]
	v_mul_f64 v[4:5], v[4:5], v[10:11]
	v_fma_f64 v[6:7], v[6:7], v[8:9], v[4:5]
	v_mul_f64 v[4:5], v[95:96], v[6:7]
	v_mul_f64 v[6:7], v[93:94], v[6:7]
	v_fma_f64 v[4:5], v[93:94], v[12:13], v[4:5]
	v_fma_f64 v[6:7], v[95:96], v[12:13], -v[6:7]
	v_mul_lo_u32 v12, v45, v75
	v_lshlrev_b32_sdwa v8, v44, v12 dst_sel:DWORD dst_unused:UNUSED_PAD src0_sel:DWORD src1_sel:BYTE_0
	v_bfe_u32 v12, v12, 8, 8
	global_load_dwordx4 v[8:11], v8, s[14:15]
	v_lshl_or_b32 v12, v12, 4, 0x1000
	global_load_dwordx4 v[12:15], v12, s[14:15]
	;; [unrolled: 15-line block ×5, first 2 shown]
	s_waitcnt vmcnt(0)
	v_mul_f64 v[20:21], v[87:88], v[91:92]
	v_fma_f64 v[93:94], v[85:86], v[89:90], -v[20:21]
	v_mul_f64 v[20:21], v[85:86], v[91:92]
	v_fma_f64 v[85:86], v[87:88], v[89:90], v[20:21]
	v_mul_f64 v[20:21], v[24:25], v[85:86]
	v_fma_f64 v[20:21], v[22:23], v[93:94], v[20:21]
	v_mul_f64 v[22:23], v[22:23], v[85:86]
	v_fma_f64 v[22:23], v[24:25], v[93:94], -v[22:23]
	v_mul_lo_u32 v24, v45, v83
	v_lshlrev_b32_sdwa v25, v44, v24 dst_sel:DWORD dst_unused:UNUSED_PAD src0_sel:DWORD src1_sel:BYTE_0
	v_bfe_u32 v24, v24, 8, 8
	global_load_dwordx4 v[85:88], v25, s[14:15]
	v_lshl_or_b32 v24, v24, 4, 0x1000
	global_load_dwordx4 v[89:92], v24, s[14:15]
	s_waitcnt vmcnt(0)
	v_mul_f64 v[24:25], v[87:88], v[91:92]
	v_fma_f64 v[93:94], v[85:86], v[89:90], -v[24:25]
	v_mul_f64 v[24:25], v[85:86], v[91:92]
	v_fma_f64 v[85:86], v[87:88], v[89:90], v[24:25]
	v_mul_f64 v[24:25], v[28:29], v[85:86]
	v_fma_f64 v[24:25], v[26:27], v[93:94], v[24:25]
	v_mul_f64 v[26:27], v[26:27], v[85:86]
	v_fma_f64 v[26:27], v[28:29], v[93:94], -v[26:27]
	v_mul_lo_u32 v28, v45, v84
	v_lshlrev_b32_sdwa v29, v44, v28 dst_sel:DWORD dst_unused:UNUSED_PAD src0_sel:DWORD src1_sel:BYTE_0
	v_bfe_u32 v28, v28, 8, 8
	global_load_dwordx4 v[85:88], v29, s[14:15]
	v_lshl_or_b32 v28, v28, 4, 0x1000
	global_load_dwordx4 v[89:92], v28, s[14:15]
	;; [unrolled: 15-line block ×8, first 2 shown]
	s_waitcnt vmcnt(0)
	v_mul_f64 v[56:57], v[87:88], v[91:92]
	v_fma_f64 v[93:94], v[85:86], v[89:90], -v[56:57]
	v_mul_f64 v[56:57], v[85:86], v[91:92]
	v_fma_f64 v[85:86], v[87:88], v[89:90], v[56:57]
	v_mul_f64 v[56:57], v[60:61], v[85:86]
	v_fma_f64 v[56:57], v[58:59], v[93:94], v[56:57]
	v_mul_f64 v[58:59], v[58:59], v[85:86]
	v_fma_f64 v[58:59], v[60:61], v[93:94], -v[58:59]
	v_mul_lo_u32 v60, v45, v79
	v_mul_lo_u32 v45, v45, v80
	v_lshlrev_b32_sdwa v61, v44, v60 dst_sel:DWORD dst_unused:UNUSED_PAD src0_sel:DWORD src1_sel:BYTE_0
	v_bfe_u32 v60, v60, 8, 8
	v_lshlrev_b32_sdwa v44, v44, v45 dst_sel:DWORD dst_unused:UNUSED_PAD src0_sel:DWORD src1_sel:BYTE_0
	global_load_dwordx4 v[85:88], v61, s[14:15]
	v_lshl_or_b32 v60, v60, 4, 0x1000
	global_load_dwordx4 v[89:92], v60, s[14:15]
	s_waitcnt vmcnt(0)
	v_mul_f64 v[60:61], v[87:88], v[91:92]
	v_fma_f64 v[93:94], v[85:86], v[89:90], -v[60:61]
	v_mul_f64 v[60:61], v[85:86], v[91:92]
	v_fma_f64 v[85:86], v[87:88], v[89:90], v[60:61]
	v_mul_f64 v[60:61], v[66:67], v[85:86]
	v_fma_f64 v[60:61], v[62:63], v[93:94], v[60:61]
	v_mul_f64 v[62:63], v[62:63], v[85:86]
	global_load_dwordx4 v[85:88], v44, s[14:15]
	v_bfe_u32 v44, v45, 8, 8
	v_lshl_or_b32 v44, v44, 4, 0x1000
	global_load_dwordx4 v[89:92], v44, s[14:15]
	v_fma_f64 v[62:63], v[66:67], v[93:94], -v[62:63]
	s_waitcnt vmcnt(0)
	v_mul_f64 v[44:45], v[87:88], v[91:92]
	v_fma_f64 v[66:67], v[85:86], v[89:90], -v[44:45]
	v_mul_f64 v[44:45], v[85:86], v[91:92]
	v_fma_f64 v[85:86], v[87:88], v[89:90], v[44:45]
	v_mul_f64 v[44:45], v[64:65], v[85:86]
	v_fma_f64 v[44:45], v[46:47], v[66:67], v[44:45]
	v_mul_f64 v[46:47], v[46:47], v[85:86]
	v_fma_f64 v[46:47], v[64:65], v[66:67], -v[46:47]
	v_mul_lo_u32 v64, s4, v77
	v_mul_lo_u32 v65, s12, v69
	s_lshl_b32 s4, s5, 4
	v_add_lshl_u32 v65, v64, v65, 4
	v_cndmask_b32_e32 v65, -1, v65, vcc_lo
	buffer_store_dwordx4 v[0:3], v65, s[0:3], s4 offen
	v_mul_lo_u32 v0, s12, v71
	v_add_lshl_u32 v0, v64, v0, 4
	v_cndmask_b32_e32 v0, -1, v0, vcc_lo
	buffer_store_dwordx4 v[4:7], v0, s[0:3], s4 offen
	v_mul_lo_u32 v0, s12, v75
	;; [unrolled: 4-line block ×15, first 2 shown]
	v_add_lshl_u32 v0, v64, v0, 4
	v_cndmask_b32_e32 v0, -1, v0, vcc_lo
	buffer_store_dwordx4 v[44:47], v0, s[0:3], s4 offen
	s_endpgm
	.section	.rodata,"a",@progbits
	.p2align	6, 0x0
	.amdhsa_kernel fft_rtc_back_len64_factors_4_4_2_2_wgs_64_tpt_4_dim2_dp_op_CI_CI_sbcc_twdbase8_2step_dirReg_intrinsicReadWrite
		.amdhsa_group_segment_fixed_size 0
		.amdhsa_private_segment_fixed_size 0
		.amdhsa_kernarg_size 104
		.amdhsa_user_sgpr_count 6
		.amdhsa_user_sgpr_private_segment_buffer 1
		.amdhsa_user_sgpr_dispatch_ptr 0
		.amdhsa_user_sgpr_queue_ptr 0
		.amdhsa_user_sgpr_kernarg_segment_ptr 1
		.amdhsa_user_sgpr_dispatch_id 0
		.amdhsa_user_sgpr_flat_scratch_init 0
		.amdhsa_user_sgpr_private_segment_size 0
		.amdhsa_wavefront_size32 1
		.amdhsa_uses_dynamic_stack 0
		.amdhsa_system_sgpr_private_segment_wavefront_offset 0
		.amdhsa_system_sgpr_workgroup_id_x 1
		.amdhsa_system_sgpr_workgroup_id_y 0
		.amdhsa_system_sgpr_workgroup_id_z 0
		.amdhsa_system_sgpr_workgroup_info 0
		.amdhsa_system_vgpr_workitem_id 0
		.amdhsa_next_free_vgpr 118
		.amdhsa_next_free_sgpr 28
		.amdhsa_reserve_vcc 1
		.amdhsa_reserve_flat_scratch 0
		.amdhsa_float_round_mode_32 0
		.amdhsa_float_round_mode_16_64 0
		.amdhsa_float_denorm_mode_32 3
		.amdhsa_float_denorm_mode_16_64 3
		.amdhsa_dx10_clamp 1
		.amdhsa_ieee_mode 1
		.amdhsa_fp16_overflow 0
		.amdhsa_workgroup_processor_mode 1
		.amdhsa_memory_ordered 1
		.amdhsa_forward_progress 0
		.amdhsa_shared_vgpr_count 0
		.amdhsa_exception_fp_ieee_invalid_op 0
		.amdhsa_exception_fp_denorm_src 0
		.amdhsa_exception_fp_ieee_div_zero 0
		.amdhsa_exception_fp_ieee_overflow 0
		.amdhsa_exception_fp_ieee_underflow 0
		.amdhsa_exception_fp_ieee_inexact 0
		.amdhsa_exception_int_div_zero 0
	.end_amdhsa_kernel
	.text
.Lfunc_end0:
	.size	fft_rtc_back_len64_factors_4_4_2_2_wgs_64_tpt_4_dim2_dp_op_CI_CI_sbcc_twdbase8_2step_dirReg_intrinsicReadWrite, .Lfunc_end0-fft_rtc_back_len64_factors_4_4_2_2_wgs_64_tpt_4_dim2_dp_op_CI_CI_sbcc_twdbase8_2step_dirReg_intrinsicReadWrite
                                        ; -- End function
	.section	.AMDGPU.csdata,"",@progbits
; Kernel info:
; codeLenInByte = 7088
; NumSgprs: 30
; NumVgprs: 118
; ScratchSize: 0
; MemoryBound: 0
; FloatMode: 240
; IeeeMode: 1
; LDSByteSize: 0 bytes/workgroup (compile time only)
; SGPRBlocks: 3
; VGPRBlocks: 14
; NumSGPRsForWavesPerEU: 30
; NumVGPRsForWavesPerEU: 118
; Occupancy: 8
; WaveLimiterHint : 0
; COMPUTE_PGM_RSRC2:SCRATCH_EN: 0
; COMPUTE_PGM_RSRC2:USER_SGPR: 6
; COMPUTE_PGM_RSRC2:TRAP_HANDLER: 0
; COMPUTE_PGM_RSRC2:TGID_X_EN: 1
; COMPUTE_PGM_RSRC2:TGID_Y_EN: 0
; COMPUTE_PGM_RSRC2:TGID_Z_EN: 0
; COMPUTE_PGM_RSRC2:TIDIG_COMP_CNT: 0
	.text
	.p2alignl 6, 3214868480
	.fill 48, 4, 3214868480
	.type	__hip_cuid_4e3b03c04d3d97fc,@object ; @__hip_cuid_4e3b03c04d3d97fc
	.section	.bss,"aw",@nobits
	.globl	__hip_cuid_4e3b03c04d3d97fc
__hip_cuid_4e3b03c04d3d97fc:
	.byte	0                               ; 0x0
	.size	__hip_cuid_4e3b03c04d3d97fc, 1

	.ident	"AMD clang version 19.0.0git (https://github.com/RadeonOpenCompute/llvm-project roc-6.4.0 25133 c7fe45cf4b819c5991fe208aaa96edf142730f1d)"
	.section	".note.GNU-stack","",@progbits
	.addrsig
	.addrsig_sym __hip_cuid_4e3b03c04d3d97fc
	.amdgpu_metadata
---
amdhsa.kernels:
  - .args:
      - .actual_access:  read_only
        .address_space:  global
        .offset:         0
        .size:           8
        .value_kind:     global_buffer
      - .address_space:  global
        .offset:         8
        .size:           8
        .value_kind:     global_buffer
      - .actual_access:  read_only
        .address_space:  global
        .offset:         16
        .size:           8
        .value_kind:     global_buffer
      - .actual_access:  read_only
        .address_space:  global
        .offset:         24
        .size:           8
        .value_kind:     global_buffer
      - .actual_access:  read_only
        .address_space:  global
        .offset:         32
        .size:           8
        .value_kind:     global_buffer
      - .offset:         40
        .size:           8
        .value_kind:     by_value
      - .actual_access:  read_only
        .address_space:  global
        .offset:         48
        .size:           8
        .value_kind:     global_buffer
      - .actual_access:  read_only
        .address_space:  global
        .offset:         56
        .size:           8
        .value_kind:     global_buffer
      - .offset:         64
        .size:           4
        .value_kind:     by_value
      - .actual_access:  read_only
        .address_space:  global
        .offset:         72
        .size:           8
        .value_kind:     global_buffer
      - .actual_access:  read_only
        .address_space:  global
        .offset:         80
        .size:           8
        .value_kind:     global_buffer
      - .address_space:  global
        .offset:         88
        .size:           8
        .value_kind:     global_buffer
      - .address_space:  global
        .offset:         96
        .size:           8
        .value_kind:     global_buffer
    .group_segment_fixed_size: 0
    .kernarg_segment_align: 8
    .kernarg_segment_size: 104
    .language:       OpenCL C
    .language_version:
      - 2
      - 0
    .max_flat_workgroup_size: 64
    .name:           fft_rtc_back_len64_factors_4_4_2_2_wgs_64_tpt_4_dim2_dp_op_CI_CI_sbcc_twdbase8_2step_dirReg_intrinsicReadWrite
    .private_segment_fixed_size: 0
    .sgpr_count:     30
    .sgpr_spill_count: 0
    .symbol:         fft_rtc_back_len64_factors_4_4_2_2_wgs_64_tpt_4_dim2_dp_op_CI_CI_sbcc_twdbase8_2step_dirReg_intrinsicReadWrite.kd
    .uniform_work_group_size: 1
    .uses_dynamic_stack: false
    .vgpr_count:     118
    .vgpr_spill_count: 0
    .wavefront_size: 32
    .workgroup_processor_mode: 1
amdhsa.target:   amdgcn-amd-amdhsa--gfx1030
amdhsa.version:
  - 1
  - 2
...

	.end_amdgpu_metadata
